;; amdgpu-corpus repo=ROCm/rocFFT kind=compiled arch=gfx1201 opt=O3
	.text
	.amdgcn_target "amdgcn-amd-amdhsa--gfx1201"
	.amdhsa_code_object_version 6
	.protected	bluestein_single_back_len77_dim1_dp_op_CI_CI ; -- Begin function bluestein_single_back_len77_dim1_dp_op_CI_CI
	.globl	bluestein_single_back_len77_dim1_dp_op_CI_CI
	.p2align	8
	.type	bluestein_single_back_len77_dim1_dp_op_CI_CI,@function
bluestein_single_back_len77_dim1_dp_op_CI_CI: ; @bluestein_single_back_len77_dim1_dp_op_CI_CI
; %bb.0:
	s_load_b128 s[16:19], s[0:1], 0x28
	v_mul_u32_u24_e32 v1, 0x1746, v0
	s_mov_b32 s2, exec_lo
	s_delay_alu instid0(VALU_DEP_1) | instskip(NEXT) | instid1(VALU_DEP_1)
	v_lshrrev_b32_e32 v1, 16, v1
	v_mad_co_u64_u32 v[112:113], null, ttmp9, 23, v[1:2]
	v_mov_b32_e32 v113, 0
	s_wait_kmcnt 0x0
	s_delay_alu instid0(VALU_DEP_1)
	v_cmpx_gt_u64_e64 s[16:17], v[112:113]
	s_cbranch_execz .LBB0_10
; %bb.1:
	s_clause 0x1
	s_load_b128 s[4:7], s[0:1], 0x18
	s_load_b128 s[8:11], s[0:1], 0x0
	v_mul_lo_u16 v1, v1, 11
	v_mul_hi_u32 v85, 0xb21642c9, v112
	s_mov_b32 s17, 0x3fe77f67
	s_mov_b32 s16, 0x5476071b
	s_delay_alu instid0(VALU_DEP_2) | instskip(NEXT) | instid1(VALU_DEP_2)
	v_sub_nc_u16 v28, v0, v1
	v_lshrrev_b32_e32 v85, 4, v85
	s_delay_alu instid0(VALU_DEP_2) | instskip(NEXT) | instid1(VALU_DEP_1)
	v_and_b32_e32 v251, 0xffff, v28
	v_lshlrev_b32_e32 v254, 4, v251
	s_wait_kmcnt 0x0
	s_load_b128 s[12:15], s[4:5], 0x0
	s_wait_kmcnt 0x0
	v_mad_co_u64_u32 v[0:1], null, s14, v112, 0
	v_mad_co_u64_u32 v[2:3], null, s12, v251, 0
	s_mul_u64 s[2:3], s[12:13], 0xb0
	s_delay_alu instid0(VALU_DEP_1) | instskip(SKIP_2) | instid1(VALU_DEP_1)
	v_mad_co_u64_u32 v[4:5], null, s15, v112, v[1:2]
	s_mov_b32 s14, 0xe976ee23
	s_mov_b32 s15, 0xbfe11646
	v_mad_co_u64_u32 v[5:6], null, s13, v251, v[3:4]
	v_mov_b32_e32 v1, v4
	s_mov_b32 s12, 0x36b3c0b5
	s_mov_b32 s13, 0x3fac98ee
	s_delay_alu instid0(VALU_DEP_1) | instskip(NEXT) | instid1(VALU_DEP_3)
	v_lshlrev_b64_e32 v[0:1], 4, v[0:1]
	v_mov_b32_e32 v3, v5
	s_delay_alu instid0(VALU_DEP_2) | instskip(NEXT) | instid1(VALU_DEP_2)
	v_add_co_u32 v0, vcc_lo, s18, v0
	v_lshlrev_b64_e32 v[2:3], 4, v[2:3]
	s_delay_alu instid0(VALU_DEP_4) | instskip(SKIP_2) | instid1(VALU_DEP_2)
	v_add_co_ci_u32_e32 v1, vcc_lo, s19, v1, vcc_lo
	s_mov_b32 s19, 0x3fd5d0dc
	s_mov_b32 s18, 0xb247c609
	v_add_co_u32 v16, vcc_lo, v0, v2
	s_wait_alu 0xfffd
	v_add_co_ci_u32_e32 v17, vcc_lo, v1, v3, vcc_lo
	s_clause 0x1
	global_load_b128 v[0:3], v254, s[8:9]
	global_load_b128 v[4:7], v254, s[8:9] offset:176
	v_add_co_u32 v18, vcc_lo, v16, s2
	s_wait_alu 0xfffd
	v_add_co_ci_u32_e32 v19, vcc_lo, s3, v17, vcc_lo
	s_clause 0x1
	global_load_b128 v[8:11], v254, s[8:9] offset:352
	global_load_b128 v[12:15], v254, s[8:9] offset:528
	v_add_co_u32 v20, vcc_lo, v18, s2
	s_wait_alu 0xfffd
	v_add_co_ci_u32_e32 v21, vcc_lo, s3, v19, vcc_lo
	global_load_b128 v[29:32], v[16:17], off
	v_add_co_u32 v22, vcc_lo, v20, s2
	s_wait_alu 0xfffd
	v_add_co_ci_u32_e32 v23, vcc_lo, s3, v21, vcc_lo
	s_clause 0x1
	global_load_b128 v[33:36], v[18:19], off
	global_load_b128 v[37:40], v[20:21], off
	v_add_co_u32 v16, vcc_lo, v22, s2
	s_wait_alu 0xfffd
	v_add_co_ci_u32_e32 v17, vcc_lo, s3, v23, vcc_lo
	s_clause 0x1
	global_load_b128 v[41:44], v[22:23], off
	global_load_b128 v[45:48], v[16:17], off
	v_add_co_u32 v24, vcc_lo, v16, s2
	s_wait_alu 0xfffd
	v_add_co_ci_u32_e32 v25, vcc_lo, s3, v17, vcc_lo
	s_delay_alu instid0(VALU_DEP_2) | instskip(SKIP_1) | instid1(VALU_DEP_2)
	v_add_co_u32 v53, vcc_lo, v24, s2
	s_wait_alu 0xfffd
	v_add_co_ci_u32_e32 v54, vcc_lo, s3, v25, vcc_lo
	s_clause 0x1
	global_load_b128 v[20:23], v254, s[8:9] offset:704
	global_load_b128 v[16:19], v254, s[8:9] offset:880
	global_load_b128 v[49:52], v[24:25], off
	global_load_b128 v[24:27], v254, s[8:9] offset:1056
	global_load_b128 v[53:56], v[53:54], off
	s_load_b128 s[4:7], s[6:7], 0x0
	s_mov_b32 s2, 0x37e14327
	s_mov_b32 s3, 0x3fe948f6
	v_cmp_gt_u16_e32 vcc_lo, 7, v28
	s_wait_loadcnt 0xd
	scratch_store_b128 off, v[0:3], off     ; 16-byte Folded Spill
	s_wait_loadcnt 0x9
	v_mul_f64_e32 v[57:58], v[31:32], v[2:3]
	v_mul_f64_e32 v[59:60], v[29:30], v[2:3]
	s_wait_loadcnt 0x8
	v_mul_f64_e32 v[61:62], v[35:36], v[6:7]
	v_mul_f64_e32 v[63:64], v[33:34], v[6:7]
	;; [unrolled: 3-line block ×7, first 2 shown]
	v_fma_f64 v[29:30], v[29:30], v[0:1], v[57:58]
	v_fma_f64 v[31:32], v[31:32], v[0:1], -v[59:60]
	v_mul_lo_u32 v57, v85, 23
	v_fma_f64 v[33:34], v[33:34], v[4:5], v[61:62]
	v_fma_f64 v[35:36], v[35:36], v[4:5], -v[63:64]
	v_fma_f64 v[37:38], v[37:38], v[8:9], v[65:66]
	v_fma_f64 v[39:40], v[39:40], v[8:9], -v[67:68]
	v_sub_nc_u32_e32 v57, v112, v57
	v_fma_f64 v[41:42], v[41:42], v[12:13], v[69:70]
	v_fma_f64 v[43:44], v[43:44], v[12:13], -v[71:72]
	s_delay_alu instid0(VALU_DEP_3)
	v_mul_u32_u24_e32 v57, 0x4d, v57
	v_fma_f64 v[45:46], v[45:46], v[20:21], v[73:74]
	v_fma_f64 v[47:48], v[47:48], v[20:21], -v[75:76]
	v_fma_f64 v[49:50], v[49:50], v[16:17], v[77:78]
	v_fma_f64 v[51:52], v[51:52], v[16:17], -v[79:80]
	;; [unrolled: 2-line block ×3, first 2 shown]
	v_lshlrev_b32_e32 v253, 4, v57
	s_delay_alu instid0(VALU_DEP_1)
	v_add_nc_u32_e32 v252, v254, v253
	ds_store_b128 v252, v[29:32]
	ds_store_b128 v252, v[33:36] offset:176
	ds_store_b128 v252, v[37:40] offset:352
	;; [unrolled: 1-line block ×6, first 2 shown]
	global_wb scope:SCOPE_SE
	s_wait_storecnt_dscnt 0x0
	s_wait_kmcnt 0x0
	s_barrier_signal -1
	s_barrier_wait -1
	global_inv scope:SCOPE_SE
	ds_load_b128 v[29:32], v252 offset:176
	ds_load_b128 v[33:36], v252 offset:1056
	;; [unrolled: 1-line block ×6, first 2 shown]
	s_wait_dscnt 0x4
	v_add_f64_e32 v[53:54], v[29:30], v[33:34]
	v_add_f64_e32 v[55:56], v[31:32], v[35:36]
	s_wait_dscnt 0x2
	v_add_f64_e32 v[57:58], v[41:42], v[37:38]
	v_add_f64_e32 v[59:60], v[43:44], v[39:40]
	;; [unrolled: 3-line block ×3, first 2 shown]
	v_add_f64_e64 v[37:38], v[41:42], -v[37:38]
	v_add_f64_e64 v[39:40], v[43:44], -v[39:40]
	;; [unrolled: 1-line block ×6, first 2 shown]
	v_add_f64_e32 v[29:30], v[57:58], v[53:54]
	v_add_f64_e32 v[31:32], v[59:60], v[55:56]
	v_add_f64_e64 v[45:46], v[53:54], -v[61:62]
	v_add_f64_e64 v[47:48], v[55:56], -v[63:64]
	v_add_f64_e64 v[49:50], v[61:62], -v[57:58]
	v_add_f64_e64 v[51:52], v[63:64], -v[59:60]
	v_add_f64_e64 v[65:66], v[41:42], -v[37:38]
	v_add_f64_e64 v[67:68], v[43:44], -v[39:40]
	v_add_f64_e64 v[69:70], v[37:38], -v[33:34]
	v_add_f64_e64 v[71:72], v[39:40], -v[35:36]
	v_add_f64_e64 v[53:54], v[57:58], -v[53:54]
	v_add_f64_e64 v[55:56], v[59:60], -v[55:56]
	v_add_f64_e32 v[37:38], v[41:42], v[37:38]
	v_add_f64_e32 v[39:40], v[43:44], v[39:40]
	v_add_f64_e64 v[41:42], v[33:34], -v[41:42]
	v_add_f64_e64 v[43:44], v[35:36], -v[43:44]
	v_add_f64_e32 v[61:62], v[61:62], v[29:30]
	v_add_f64_e32 v[63:64], v[63:64], v[31:32]
	ds_load_b128 v[29:32], v252
	s_wait_alu 0xfffe
	v_mul_f64_e32 v[45:46], s[2:3], v[45:46]
	v_mul_f64_e32 v[47:48], s[2:3], v[47:48]
	s_mov_b32 s2, 0x429ad128
	v_mul_f64_e32 v[57:58], s[12:13], v[49:50]
	v_mul_f64_e32 v[59:60], s[12:13], v[51:52]
	;; [unrolled: 1-line block ×4, first 2 shown]
	s_mov_b32 s3, 0x3febfeb5
	s_mov_b32 s14, 0xaaaaaaaa
	s_wait_alu 0xfffe
	v_mul_f64_e32 v[73:74], s[2:3], v[69:70]
	v_mul_f64_e32 v[75:76], s[2:3], v[71:72]
	s_mov_b32 s15, 0xbff2aaaa
	global_wb scope:SCOPE_SE
	s_wait_dscnt 0x0
	s_barrier_signal -1
	s_barrier_wait -1
	global_inv scope:SCOPE_SE
	v_add_f64_e32 v[84:85], v[29:30], v[61:62]
	v_add_f64_e32 v[86:87], v[31:32], v[63:64]
	;; [unrolled: 1-line block ×4, first 2 shown]
	v_fma_f64 v[33:34], v[49:50], s[12:13], v[45:46]
	v_fma_f64 v[35:36], v[51:52], s[12:13], v[47:48]
	v_fma_f64 v[37:38], v[53:54], s[16:17], -v[57:58]
	v_fma_f64 v[39:40], v[55:56], s[16:17], -v[59:60]
	s_mov_b32 s17, 0xbfe77f67
	v_fma_f64 v[49:50], v[41:42], s[18:19], v[65:66]
	v_fma_f64 v[51:52], v[43:44], s[18:19], v[67:68]
	s_mov_b32 s19, 0xbfd5d0dc
	v_fma_f64 v[57:58], v[69:70], s[2:3], -v[65:66]
	v_fma_f64 v[59:60], v[71:72], s[2:3], -v[67:68]
	s_wait_alu 0xfffe
	v_fma_f64 v[41:42], v[41:42], s[18:19], -v[73:74]
	v_fma_f64 v[43:44], v[43:44], s[18:19], -v[75:76]
	;; [unrolled: 1-line block ×4, first 2 shown]
	s_mov_b32 s2, 0x37c3f68c
	s_mov_b32 s3, 0x3fdc38aa
                                        ; implicit-def: $vgpr76_vgpr77
	v_fma_f64 v[61:62], v[61:62], s[14:15], v[84:85]
	v_fma_f64 v[63:64], v[63:64], s[14:15], v[86:87]
	s_wait_alu 0xfffe
	v_fma_f64 v[53:54], v[29:30], s[2:3], v[49:50]
	v_fma_f64 v[55:56], v[31:32], s[2:3], v[51:52]
	;; [unrolled: 1-line block ×6, first 2 shown]
	s_load_b64 s[2:3], s[0:1], 0x38
	v_add_co_u32 v88, s0, s8, v254
	s_wait_alu 0xf1ff
	v_add_co_ci_u32_e64 v89, null, s9, 0, s0
	v_add_f64_e32 v[33:34], v[33:34], v[61:62]
	v_add_f64_e32 v[41:42], v[35:36], v[63:64]
	;; [unrolled: 1-line block ×7, first 2 shown]
	v_add_f64_e64 v[38:39], v[41:42], -v[53:54]
	v_add_f64_e32 v[44:45], v[65:66], v[31:32]
	v_add_f64_e64 v[46:47], v[70:71], -v[29:30]
	v_add_f64_e64 v[48:49], v[61:62], -v[59:60]
	v_add_f64_e32 v[50:51], v[57:58], v[63:64]
	v_add_f64_e32 v[60:61], v[61:62], v[59:60]
	v_add_f64_e64 v[62:63], v[63:64], -v[57:58]
	v_add_f64_e64 v[68:69], v[65:66], -v[31:32]
	v_add_f64_e32 v[70:71], v[29:30], v[70:71]
	v_add_f64_e64 v[72:73], v[33:34], -v[55:56]
	v_add_f64_e32 v[74:75], v[53:54], v[41:42]
	v_mul_lo_u16 v29, v28, 7
                                        ; implicit-def: $vgpr64_vgpr65
                                        ; implicit-def: $vgpr52_vgpr53
                                        ; implicit-def: $vgpr56_vgpr57
	s_delay_alu instid0(VALU_DEP_1) | instskip(NEXT) | instid1(VALU_DEP_1)
	v_and_b32_e32 v28, 0xffff, v29
	v_lshl_add_u32 v255, v28, 4, v253
	ds_store_b128 v255, v[84:87]
	ds_store_b128 v255, v[36:39] offset:16
	ds_store_b128 v255, v[44:47] offset:32
	;; [unrolled: 1-line block ×6, first 2 shown]
	global_wb scope:SCOPE_SE
	s_wait_dscnt 0x0
	s_wait_kmcnt 0x0
	s_barrier_signal -1
	s_barrier_wait -1
	global_inv scope:SCOPE_SE
	s_and_saveexec_b32 s0, vcc_lo
	s_cbranch_execz .LBB0_3
; %bb.2:
	ds_load_b128 v[84:87], v252
	ds_load_b128 v[36:39], v252 offset:112
	ds_load_b128 v[44:47], v252 offset:224
	;; [unrolled: 1-line block ×10, first 2 shown]
.LBB0_3:
	s_wait_alu 0xfffe
	s_or_b32 exec_lo, exec_lo, s0
	v_add_nc_u32_e32 v28, -7, v251
	s_mov_b32 s24, 0xf8bb580b
	s_mov_b32 s25, 0xbfe14ced
	;; [unrolled: 1-line block ×4, first 2 shown]
	v_cndmask_b32_e32 v28, v28, v251, vcc_lo
	s_mov_b32 s14, 0x43842ef
	s_mov_b32 s15, 0xbfefac9e
	;; [unrolled: 1-line block ×4, first 2 shown]
	v_mul_hi_i32_i24_e32 v29, 10, v28
	v_mul_i32_i24_e32 v28, 10, v28
	s_mov_b32 s22, 0xbb3a28a1
	s_mov_b32 s23, 0xbfe82f19
	;; [unrolled: 1-line block ×4, first 2 shown]
	v_lshlrev_b64_e32 v[28:29], 4, v[28:29]
	s_mov_b32 s36, 0xfd768dbf
	s_mov_b32 s37, 0x3fd207e7
	;; [unrolled: 1-line block ×5, first 2 shown]
	v_add_co_u32 v80, s0, s10, v28
	s_wait_alu 0xf1ff
	v_add_co_ci_u32_e64 v81, s0, s11, v29, s0
	s_mov_b32 s10, 0x8764f0ba
	s_mov_b32 s11, 0x3feaeb8c
	s_clause 0x1
	global_load_b128 v[28:31], v[80:81], off
	global_load_b128 v[32:35], v[80:81], off offset:16
	s_mov_b32 s0, 0xd9c712b6
	s_mov_b32 s1, 0x3fda9628
	;; [unrolled: 1-line block ×4, first 2 shown]
	s_wait_alu 0xfffe
	s_mov_b32 s30, s14
	s_mov_b32 s27, 0x3fe14ced
	;; [unrolled: 1-line block ×5, first 2 shown]
	s_wait_loadcnt_dscnt 0x109
	v_mul_f64_e32 v[40:41], v[38:39], v[30:31]
	s_delay_alu instid0(VALU_DEP_1) | instskip(SKIP_1) | instid1(VALU_DEP_1)
	v_fma_f64 v[127:128], v[36:37], v[28:29], -v[40:41]
	v_mul_f64_e32 v[36:37], v[36:37], v[30:31]
	v_fma_f64 v[129:130], v[38:39], v[28:29], v[36:37]
	s_clause 0x1
	global_load_b128 v[36:39], v[80:81], off offset:144
	global_load_b128 v[40:43], v[80:81], off offset:128
	s_wait_loadcnt_dscnt 0x100
	v_mul_f64_e32 v[82:83], v[56:57], v[38:39]
	s_delay_alu instid0(VALU_DEP_1) | instskip(SKIP_1) | instid1(VALU_DEP_2)
	v_fma_f64 v[90:91], v[58:59], v[36:37], v[82:83]
	v_mul_f64_e32 v[58:59], v[58:59], v[38:39]
	v_add_f64_e64 v[181:182], v[129:130], -v[90:91]
	s_delay_alu instid0(VALU_DEP_2) | instskip(SKIP_2) | instid1(VALU_DEP_4)
	v_fma_f64 v[92:93], v[56:57], v[36:37], -v[58:59]
	v_mul_f64_e32 v[56:57], v[46:47], v[34:35]
	v_add_f64_e32 v[235:236], v[129:130], v[90:91]
	v_mul_f64_e32 v[175:176], s[24:25], v[181:182]
	s_delay_alu instid0(VALU_DEP_4) | instskip(NEXT) | instid1(VALU_DEP_4)
	v_add_f64_e32 v[179:180], v[127:128], v[92:93]
	v_fma_f64 v[98:99], v[44:45], v[32:33], -v[56:57]
	v_mul_f64_e32 v[44:45], v[44:45], v[34:35]
	v_add_f64_e64 v[237:238], v[127:128], -v[92:93]
	v_mul_f64_e32 v[239:240], s[18:19], v[181:182]
	v_mul_f64_e32 v[243:244], s[14:15], v[181:182]
	;; [unrolled: 1-line block ×3, first 2 shown]
	v_fma_f64 v[100:101], v[46:47], v[32:33], v[44:45]
	s_wait_loadcnt 0x0
	v_mul_f64_e32 v[44:45], v[52:53], v[42:43]
	v_mul_f64_e32 v[233:234], s[24:25], v[237:238]
	;; [unrolled: 1-line block ×5, first 2 shown]
	v_fma_f64 v[94:95], v[54:55], v[40:41], v[44:45]
	v_mul_f64_e32 v[44:45], v[54:55], v[42:43]
	s_delay_alu instid0(VALU_DEP_2) | instskip(NEXT) | instid1(VALU_DEP_2)
	v_add_f64_e64 v[171:172], v[100:101], -v[94:95]
	v_fma_f64 v[197:198], v[52:53], v[40:41], -v[44:45]
	s_clause 0x1
	global_load_b128 v[44:47], v[80:81], off offset:32
	global_load_b128 v[52:55], v[80:81], off offset:48
	v_add_f64_e32 v[135:136], v[100:101], v[94:95]
	v_mul_f64_e32 v[137:138], s[18:19], v[171:172]
	v_add_f64_e32 v[131:132], v[98:99], v[197:198]
	v_add_f64_e64 v[143:144], v[98:99], -v[197:198]
	v_mul_f64_e32 v[0:1], s[22:23], v[171:172]
	v_mul_f64_e32 v[187:188], s[36:37], v[171:172]
	;; [unrolled: 1-line block ×3, first 2 shown]
	s_delay_alu instid0(VALU_DEP_4) | instskip(SKIP_3) | instid1(VALU_DEP_1)
	v_mul_f64_e32 v[141:142], s[18:19], v[143:144]
	v_mul_f64_e32 v[189:190], s[22:23], v[143:144]
	;; [unrolled: 1-line block ×4, first 2 shown]
	v_fma_f64 v[215:216], v[135:136], s[12:13], -v[225:226]
	s_wait_loadcnt 0x1
	v_mul_f64_e32 v[56:57], v[50:51], v[46:47]
	s_delay_alu instid0(VALU_DEP_1) | instskip(SKIP_1) | instid1(VALU_DEP_1)
	v_fma_f64 v[151:152], v[48:49], v[44:45], -v[56:57]
	v_mul_f64_e32 v[48:49], v[48:49], v[46:47]
	v_fma_f64 v[104:105], v[50:51], v[44:45], v[48:49]
	s_clause 0x1
	global_load_b128 v[48:51], v[80:81], off offset:112
	global_load_b128 v[56:59], v[80:81], off offset:96
	s_wait_loadcnt 0x1
	v_mul_f64_e32 v[82:83], v[76:77], v[50:51]
	s_delay_alu instid0(VALU_DEP_1) | instskip(SKIP_2) | instid1(VALU_DEP_3)
	v_fma_f64 v[106:107], v[78:79], v[48:49], v[82:83]
	v_mul_f64_e32 v[78:79], v[78:79], v[50:51]
	v_fma_f64 v[82:83], v[131:132], s[12:13], v[209:210]
	v_add_f64_e64 v[177:178], v[104:105], -v[106:107]
	s_delay_alu instid0(VALU_DEP_3)
	v_fma_f64 v[108:109], v[76:77], v[48:49], -v[78:79]
	v_mul_f64_e32 v[76:77], v[62:63], v[54:55]
	v_add_f64_e32 v[145:146], v[104:105], v[106:107]
	v_fma_f64 v[78:79], v[131:132], s[20:21], v[187:188]
	v_mul_f64_e32 v[147:148], s[14:15], v[177:178]
	v_add_f64_e32 v[139:140], v[151:152], v[108:109]
	v_fma_f64 v[113:114], v[60:61], v[52:53], -v[76:77]
	v_mul_f64_e32 v[60:61], v[60:61], v[54:55]
	v_add_f64_e64 v[153:154], v[151:152], -v[108:109]
	v_mul_f64_e32 v[195:196], s[36:37], v[177:178]
	v_mul_f64_e32 v[205:206], s[28:29], v[177:178]
	s_delay_alu instid0(VALU_DEP_4)
	v_fma_f64 v[117:118], v[62:63], v[52:53], v[60:61]
	s_wait_loadcnt 0x0
	v_mul_f64_e32 v[60:61], v[66:67], v[58:59]
	v_mul_f64_e32 v[157:158], s[14:15], v[153:154]
	;; [unrolled: 1-line block ×5, first 2 shown]
	v_fma_f64 v[110:111], v[64:65], v[56:57], -v[60:61]
	v_mul_f64_e32 v[60:61], v[64:65], v[58:59]
	s_delay_alu instid0(VALU_DEP_2) | instskip(NEXT) | instid1(VALU_DEP_2)
	v_add_f64_e32 v[149:150], v[113:114], v[110:111]
	v_fma_f64 v[115:116], v[66:67], v[56:57], v[60:61]
	s_clause 0x1
	global_load_b128 v[60:63], v[80:81], off offset:64
	global_load_b128 v[64:67], v[80:81], off offset:80
	v_add_f64_e64 v[167:168], v[113:114], -v[110:111]
	v_fma_f64 v[80:81], v[135:136], s[20:21], -v[203:204]
	v_add_f64_e64 v[173:174], v[117:118], -v[115:116]
	v_add_f64_e32 v[159:160], v[117:118], v[115:116]
	s_delay_alu instid0(VALU_DEP_4)
	v_mul_f64_e32 v[165:166], s[22:23], v[167:168]
	v_mul_f64_e32 v[199:200], s[30:31], v[167:168]
	;; [unrolled: 1-line block ×8, first 2 shown]
	s_wait_loadcnt 0x1
	v_mul_f64_e32 v[76:77], v[70:71], v[62:63]
	s_delay_alu instid0(VALU_DEP_1) | instskip(SKIP_2) | instid1(VALU_DEP_2)
	v_fma_f64 v[119:120], v[68:69], v[60:61], -v[76:77]
	v_mul_f64_e32 v[68:69], v[68:69], v[62:63]
	v_fma_f64 v[76:77], v[135:136], s[16:17], -v[189:190]
	v_fma_f64 v[123:124], v[70:71], v[60:61], v[68:69]
	s_wait_loadcnt 0x0
	v_mul_f64_e32 v[68:69], v[74:75], v[66:67]
	v_fma_f64 v[70:71], v[131:132], s[0:1], v[137:138]
	s_delay_alu instid0(VALU_DEP_2) | instskip(SKIP_2) | instid1(VALU_DEP_3)
	v_fma_f64 v[121:122], v[72:73], v[64:65], -v[68:69]
	v_mul_f64_e32 v[68:69], v[72:73], v[66:67]
	v_fma_f64 v[72:73], v[135:136], s[0:1], -v[141:142]
	v_add_f64_e32 v[155:156], v[119:120], v[121:122]
	s_delay_alu instid0(VALU_DEP_3) | instskip(SKIP_3) | instid1(VALU_DEP_4)
	v_fma_f64 v[125:126], v[74:75], v[64:65], v[68:69]
	v_fma_f64 v[68:69], v[179:180], s[10:11], v[175:176]
	v_add_f64_e64 v[169:170], v[119:120], -v[121:122]
	v_fma_f64 v[74:75], v[131:132], s[16:17], v[0:1]
	v_add_f64_e64 v[185:186], v[123:124], -v[125:126]
	s_delay_alu instid0(VALU_DEP_4)
	v_add_f64_e32 v[68:69], v[84:85], v[68:69]
	v_add_f64_e32 v[163:164], v[123:124], v[125:126]
	v_mul_f64_e32 v[2:3], s[34:35], v[169:170]
	v_mul_f64_e32 v[201:202], s[26:27], v[169:170]
	;; [unrolled: 1-line block ×4, first 2 shown]
	v_add_f64_e32 v[68:69], v[70:71], v[68:69]
	v_fma_f64 v[70:71], v[235:236], s[10:11], -v[233:234]
	v_mul_f64_e32 v[193:194], s[26:27], v[185:186]
	v_mul_f64_e32 v[207:208], s[22:23], v[185:186]
	s_delay_alu instid0(VALU_DEP_3) | instskip(NEXT) | instid1(VALU_DEP_1)
	v_add_f64_e32 v[70:71], v[86:87], v[70:71]
	v_add_f64_e32 v[70:71], v[72:73], v[70:71]
	v_fma_f64 v[72:73], v[139:140], s[12:13], v[147:148]
	s_delay_alu instid0(VALU_DEP_1) | instskip(SKIP_1) | instid1(VALU_DEP_1)
	v_add_f64_e32 v[68:69], v[72:73], v[68:69]
	v_fma_f64 v[72:73], v[145:146], s[12:13], -v[157:158]
	v_add_f64_e32 v[70:71], v[72:73], v[70:71]
	v_fma_f64 v[72:73], v[149:150], s[16:17], v[161:162]
	s_delay_alu instid0(VALU_DEP_1) | instskip(SKIP_1) | instid1(VALU_DEP_1)
	v_add_f64_e32 v[68:69], v[72:73], v[68:69]
	v_fma_f64 v[72:73], v[159:160], s[16:17], -v[165:166]
	v_add_f64_e32 v[70:71], v[72:73], v[70:71]
	v_fma_f64 v[72:73], v[155:156], s[20:21], v[102:103]
	s_delay_alu instid0(VALU_DEP_1) | instskip(SKIP_1) | instid1(VALU_DEP_1)
	v_add_f64_e32 v[68:69], v[72:73], v[68:69]
	v_fma_f64 v[72:73], v[163:164], s[20:21], -v[2:3]
	v_add_f64_e32 v[70:71], v[72:73], v[70:71]
	v_fma_f64 v[72:73], v[179:180], s[0:1], v[239:240]
	s_delay_alu instid0(VALU_DEP_1) | instskip(NEXT) | instid1(VALU_DEP_1)
	v_add_f64_e32 v[72:73], v[84:85], v[72:73]
	v_add_f64_e32 v[72:73], v[74:75], v[72:73]
	v_fma_f64 v[74:75], v[235:236], s[0:1], -v[241:242]
	s_delay_alu instid0(VALU_DEP_1) | instskip(NEXT) | instid1(VALU_DEP_1)
	v_add_f64_e32 v[74:75], v[86:87], v[74:75]
	v_add_f64_e32 v[74:75], v[76:77], v[74:75]
	v_fma_f64 v[76:77], v[139:140], s[20:21], v[195:196]
	s_delay_alu instid0(VALU_DEP_1) | instskip(SKIP_1) | instid1(VALU_DEP_1)
	v_add_f64_e32 v[72:73], v[76:77], v[72:73]
	v_fma_f64 v[76:77], v[145:146], s[20:21], -v[183:184]
	v_add_f64_e32 v[74:75], v[76:77], v[74:75]
	v_fma_f64 v[76:77], v[149:150], s[12:13], v[191:192]
	s_delay_alu instid0(VALU_DEP_1) | instskip(SKIP_1) | instid1(VALU_DEP_1)
	v_add_f64_e32 v[72:73], v[76:77], v[72:73]
	v_fma_f64 v[76:77], v[159:160], s[12:13], -v[199:200]
	v_add_f64_e32 v[74:75], v[76:77], v[74:75]
	v_fma_f64 v[76:77], v[155:156], s[10:11], v[193:194]
	s_delay_alu instid0(VALU_DEP_1) | instskip(SKIP_1) | instid1(VALU_DEP_1)
	v_add_f64_e32 v[72:73], v[76:77], v[72:73]
	v_fma_f64 v[76:77], v[163:164], s[10:11], -v[201:202]
	v_add_f64_e32 v[74:75], v[76:77], v[74:75]
	v_fma_f64 v[76:77], v[179:180], s[12:13], v[243:244]
	s_delay_alu instid0(VALU_DEP_1) | instskip(NEXT) | instid1(VALU_DEP_1)
	v_add_f64_e32 v[76:77], v[84:85], v[76:77]
	v_add_f64_e32 v[76:77], v[78:79], v[76:77]
	v_fma_f64 v[78:79], v[235:236], s[12:13], -v[245:246]
	s_delay_alu instid0(VALU_DEP_1) | instskip(NEXT) | instid1(VALU_DEP_1)
	;; [unrolled: 23-line block ×3, first 2 shown]
	v_add_f64_e32 v[82:83], v[86:87], v[82:83]
	v_add_f64_e32 v[82:83], v[215:216], v[82:83]
	v_mul_f64_e32 v[215:216], s[24:25], v[177:178]
	s_delay_alu instid0(VALU_DEP_1) | instskip(NEXT) | instid1(VALU_DEP_1)
	v_fma_f64 v[219:220], v[139:140], s[10:11], v[215:216]
	v_add_f64_e32 v[80:81], v[219:220], v[80:81]
	v_fma_f64 v[219:220], v[145:146], s[10:11], -v[227:228]
	s_delay_alu instid0(VALU_DEP_1) | instskip(SKIP_1) | instid1(VALU_DEP_1)
	v_add_f64_e32 v[82:83], v[219:220], v[82:83]
	v_fma_f64 v[219:220], v[149:150], s[20:21], v[223:224]
	v_add_f64_e32 v[80:81], v[219:220], v[80:81]
	v_fma_f64 v[219:220], v[159:160], s[20:21], -v[229:230]
	s_delay_alu instid0(VALU_DEP_1) | instskip(SKIP_1) | instid1(VALU_DEP_1)
	v_add_f64_e32 v[82:83], v[219:220], v[82:83]
	v_mul_f64_e32 v[219:220], s[28:29], v[185:186]
	v_fma_f64 v[231:232], v[155:156], s[0:1], v[219:220]
	s_delay_alu instid0(VALU_DEP_1) | instskip(SKIP_1) | instid1(VALU_DEP_1)
	v_add_f64_e32 v[80:81], v[231:232], v[80:81]
	v_mul_f64_e32 v[231:232], s[28:29], v[169:170]
	v_fma_f64 v[133:134], v[163:164], s[0:1], -v[231:232]
	s_delay_alu instid0(VALU_DEP_1)
	v_add_f64_e32 v[82:83], v[133:134], v[82:83]
	s_and_saveexec_b32 s33, vcc_lo
	s_cbranch_execz .LBB0_5
; %bb.4:
	v_mul_f64_e32 v[133:134], s[20:21], v[235:236]
	v_add_f64_e32 v[129:130], v[86:87], v[129:130]
	scratch_store_b64 off, v[90:91], off offset:16 ; 8-byte Folded Spill
	v_mul_f64_e32 v[181:182], s[34:35], v[181:182]
	v_add_f64_e32 v[127:128], v[84:85], v[127:128]
	v_mul_f64_e32 v[96:97], s[0:1], v[159:160]
	v_mul_f64_e32 v[185:186], s[14:15], v[185:186]
	v_fma_f64 v[90:91], v[237:238], s[36:37], v[133:134]
	scratch_store_b64 off, v[129:130], off offset:24 ; 8-byte Folded Spill
	v_fma_f64 v[133:134], v[237:238], s[34:35], v[133:134]
	v_mul_f64_e32 v[237:238], s[16:17], v[235:236]
	scratch_store_b64 off, v[127:128], off offset:32 ; 8-byte Folded Spill
	v_add_f64_e32 v[90:91], v[86:87], v[90:91]
	v_add_f64_e32 v[133:134], v[86:87], v[133:134]
	;; [unrolled: 1-line block ×3, first 2 shown]
	v_mul_f64_e32 v[249:250], s[12:13], v[235:236]
	s_delay_alu instid0(VALU_DEP_1) | instskip(SKIP_2) | instid1(VALU_DEP_2)
	v_add_f64_e32 v[245:246], v[245:246], v[249:250]
	v_mul_f64_e32 v[249:250], s[0:1], v[235:236]
	v_mul_f64_e32 v[235:236], s[10:11], v[235:236]
	v_add_f64_e32 v[241:242], v[241:242], v[249:250]
	v_mul_f64_e32 v[249:250], s[0:1], v[179:180]
	s_delay_alu instid0(VALU_DEP_3)
	v_add_f64_e32 v[233:234], v[233:234], v[235:236]
	v_fma_f64 v[235:236], v[179:180], s[20:21], v[181:182]
	v_fma_f64 v[181:182], v[179:180], s[20:21], -v[181:182]
	v_add_f64_e32 v[129:130], v[86:87], v[241:242]
	v_add_f64_e64 v[239:240], v[249:250], -v[239:240]
	v_mul_f64_e32 v[249:250], s[12:13], v[179:180]
	v_add_f64_e32 v[127:128], v[84:85], v[235:236]
	v_add_f64_e32 v[235:236], v[86:87], v[237:238]
	;; [unrolled: 1-line block ×5, first 2 shown]
	v_add_f64_e64 v[243:244], v[249:250], -v[243:244]
	v_mul_f64_e32 v[249:250], s[16:17], v[179:180]
	v_mul_f64_e32 v[179:180], s[10:11], v[179:180]
	s_delay_alu instid0(VALU_DEP_3) | instskip(NEXT) | instid1(VALU_DEP_3)
	v_add_f64_e32 v[241:242], v[84:85], v[243:244]
	v_add_f64_e64 v[247:248], v[249:250], -v[247:248]
	s_delay_alu instid0(VALU_DEP_3)
	v_add_f64_e64 v[175:176], v[179:180], -v[175:176]
	v_add_f64_e32 v[249:250], v[86:87], v[233:234]
	v_dual_mov_b32 v234, v93 :: v_dual_mov_b32 v233, v92
	v_mul_f64_e32 v[92:93], s[16:17], v[145:146]
	v_dual_mov_b32 v180, v152 :: v_dual_mov_b32 v179, v151
	v_dual_mov_b32 v152, v95 :: v_dual_mov_b32 v151, v94
	v_mul_f64_e32 v[94:95], s[22:23], v[177:178]
	v_dual_mov_b32 v177, v195 :: v_dual_mov_b32 v178, v196
	v_dual_mov_b32 v196, v122 :: v_dual_mov_b32 v195, v121
	;; [unrolled: 1-line block ×4, first 2 shown]
	v_mul_f64_e32 v[100:101], s[12:13], v[163:164]
	v_add_f64_e32 v[243:244], v[84:85], v[247:248]
	v_mul_f64_e32 v[247:248], s[10:11], v[135:136]
	v_add_f64_e32 v[245:246], v[84:85], v[175:176]
	v_dual_mov_b32 v176, v1 :: v_dual_mov_b32 v175, v0
	v_dual_mov_b32 v0, v110 :: v_dual_mov_b32 v1, v111
	;; [unrolled: 1-line block ×3, first 2 shown]
	v_mul_f64_e32 v[98:99], s[28:29], v[173:174]
	v_mul_f64_e32 v[173:174], s[20:21], v[145:146]
	v_fma_f64 v[84:85], v[143:144], s[24:25], v[247:248]
	s_mov_b32 s25, 0x3fe82f19
	s_mov_b32 s24, s22
	v_fma_f64 v[143:144], v[143:144], s[26:27], v[247:248]
	s_delay_alu instid0(VALU_DEP_3) | instskip(SKIP_1) | instid1(VALU_DEP_4)
	v_add_f64_e32 v[173:174], v[183:184], v[173:174]
	v_mul_f64_e32 v[183:184], s[12:13], v[149:150]
	v_add_f64_e32 v[84:85], v[84:85], v[90:91]
	v_mul_f64_e32 v[90:91], s[26:27], v[171:172]
	v_mul_f64_e32 v[171:172], s[16:17], v[131:132]
	v_add_f64_e32 v[133:134], v[143:144], v[133:134]
	v_add_f64_e64 v[183:184], v[183:184], -v[191:192]
	v_mul_f64_e32 v[191:192], s[20:21], v[149:150]
	v_fma_f64 v[86:87], v[131:132], s[10:11], v[90:91]
	v_add_f64_e64 v[171:172], v[171:172], -v[175:176]
	v_mul_f64_e32 v[175:176], s[20:21], v[139:140]
	v_fma_f64 v[90:91], v[131:132], s[10:11], -v[90:91]
	v_add_f64_e64 v[191:192], v[191:192], -v[223:224]
	v_add_f64_e32 v[86:87], v[86:87], v[127:128]
	s_wait_alu 0xfffe
	v_fma_f64 v[127:128], v[153:154], s[24:25], v[92:93]
	v_add_f64_e64 v[175:176], v[175:176], -v[177:178]
	v_mul_f64_e32 v[177:178], s[12:13], v[159:160]
	v_fma_f64 v[92:93], v[153:154], s[22:23], v[92:93]
	v_add_f64_e32 v[90:91], v[90:91], v[181:182]
	v_add_f64_e32 v[84:85], v[127:128], v[84:85]
	v_fma_f64 v[127:128], v[139:140], s[16:17], v[94:95]
	v_add_f64_e32 v[177:178], v[199:200], v[177:178]
	v_add_f64_e32 v[92:93], v[92:93], v[133:134]
	v_fma_f64 v[94:95], v[139:140], s[16:17], -v[94:95]
	s_delay_alu instid0(VALU_DEP_4) | instskip(SKIP_2) | instid1(VALU_DEP_4)
	v_add_f64_e32 v[86:87], v[127:128], v[86:87]
	v_fma_f64 v[127:128], v[167:168], s[18:19], v[96:97]
	v_fma_f64 v[96:97], v[167:168], s[28:29], v[96:97]
	v_add_f64_e32 v[90:91], v[94:95], v[90:91]
	v_fma_f64 v[94:95], v[149:150], s[0:1], -v[98:99]
	s_delay_alu instid0(VALU_DEP_4) | instskip(SKIP_2) | instid1(VALU_DEP_4)
	v_add_f64_e32 v[84:85], v[127:128], v[84:85]
	v_fma_f64 v[127:128], v[149:150], s[0:1], v[98:99]
	v_add_f64_e32 v[92:93], v[96:97], v[92:93]
	v_add_f64_e32 v[90:91], v[94:95], v[90:91]
	v_fma_f64 v[94:95], v[155:156], s[12:13], -v[185:186]
	v_mul_f64_e32 v[98:99], s[16:17], v[159:160]
	v_mul_f64_e32 v[96:97], s[12:13], v[139:140]
	v_add_f64_e32 v[127:128], v[127:128], v[86:87]
	v_fma_f64 v[86:87], v[169:170], s[30:31], v[100:101]
	v_fma_f64 v[100:101], v[169:170], s[14:15], v[100:101]
	v_add_f64_e32 v[167:168], v[94:95], v[90:91]
	v_mul_f64_e32 v[90:91], s[0:1], v[135:136]
	v_mul_f64_e32 v[94:95], s[12:13], v[145:146]
	v_add_f64_e32 v[98:99], v[165:166], v[98:99]
	v_add_f64_e64 v[96:97], v[96:97], -v[147:148]
	v_add_f64_e32 v[86:87], v[86:87], v[84:85]
	v_fma_f64 v[84:85], v[155:156], s[12:13], v[185:186]
	v_add_f64_e32 v[169:170], v[100:101], v[92:93]
	v_mul_f64_e32 v[92:93], s[0:1], v[131:132]
	v_add_f64_e32 v[90:91], v[141:142], v[90:91]
	v_add_f64_e32 v[94:95], v[157:158], v[94:95]
	v_mul_f64_e32 v[100:101], s[16:17], v[149:150]
	v_add_f64_e32 v[84:85], v[84:85], v[127:128]
	v_mul_f64_e32 v[127:128], s[16:17], v[135:136]
	v_add_f64_e64 v[92:93], v[92:93], -v[137:138]
	v_add_f64_e32 v[90:91], v[90:91], v[249:250]
	v_add_f64_e64 v[100:101], v[100:101], -v[161:162]
	s_delay_alu instid0(VALU_DEP_4) | instskip(SKIP_1) | instid1(VALU_DEP_4)
	v_add_f64_e32 v[127:128], v[189:190], v[127:128]
	v_mul_f64_e32 v[189:190], s[16:17], v[163:164]
	v_add_f64_e32 v[90:91], v[94:95], v[90:91]
	v_add_f64_e32 v[92:93], v[92:93], v[245:246]
	v_mul_f64_e32 v[94:95], s[20:21], v[155:156]
	v_add_f64_e32 v[127:128], v[127:128], v[129:130]
	;; [unrolled: 3-line block ×3, first 2 shown]
	v_add_f64_e32 v[90:91], v[98:99], v[90:91]
	v_add_f64_e32 v[92:93], v[96:97], v[92:93]
	v_add_f64_e64 v[94:95], v[94:95], -v[102:103]
	v_add_f64_e32 v[127:128], v[173:174], v[127:128]
	v_add_f64_e32 v[129:130], v[175:176], v[129:130]
	v_mul_f64_e32 v[173:174], s[10:11], v[155:156]
	v_add_f64_e32 v[171:172], v[201:202], v[171:172]
	v_add_f64_e32 v[92:93], v[100:101], v[92:93]
	;; [unrolled: 1-line block ×4, first 2 shown]
	v_add_f64_e64 v[173:174], v[173:174], -v[193:194]
	v_mul_f64_e32 v[177:178], s[0:1], v[139:140]
	v_mul_f64_e32 v[183:184], s[10:11], v[159:160]
	v_mul_f64_e32 v[193:194], s[0:1], v[163:164]
	v_add_f64_e32 v[129:130], v[171:172], v[127:128]
	v_mul_f64_e32 v[171:172], s[20:21], v[135:136]
	v_add_f64_e32 v[127:128], v[173:174], v[175:176]
	v_mul_f64_e32 v[173:174], s[20:21], v[131:132]
	v_mul_f64_e32 v[175:176], s[0:1], v[145:146]
	v_add_f64_e64 v[177:178], v[177:178], -v[205:206]
	v_add_f64_e32 v[183:184], v[217:218], v[183:184]
	v_add_f64_e32 v[193:194], v[231:232], v[193:194]
	;; [unrolled: 1-line block ×3, first 2 shown]
	v_add_f64_e64 v[173:174], v[173:174], -v[187:188]
	v_add_f64_e32 v[175:176], v[213:214], v[175:176]
	v_mul_f64_e32 v[187:188], s[10:11], v[149:150]
	s_delay_alu instid0(VALU_DEP_4) | instskip(NEXT) | instid1(VALU_DEP_4)
	v_add_f64_e32 v[171:172], v[171:172], v[237:238]
	v_add_f64_e32 v[173:174], v[173:174], v[241:242]
	s_delay_alu instid0(VALU_DEP_3) | instskip(NEXT) | instid1(VALU_DEP_3)
	v_add_f64_e64 v[187:188], v[187:188], -v[211:212]
	v_add_f64_e32 v[171:172], v[175:176], v[171:172]
	v_mul_f64_e32 v[175:176], s[16:17], v[155:156]
	s_delay_alu instid0(VALU_DEP_4) | instskip(NEXT) | instid1(VALU_DEP_3)
	v_add_f64_e32 v[173:174], v[177:178], v[173:174]
	v_add_f64_e32 v[171:172], v[183:184], v[171:172]
	s_delay_alu instid0(VALU_DEP_3) | instskip(NEXT) | instid1(VALU_DEP_3)
	v_add_f64_e64 v[175:176], v[175:176], -v[207:208]
	v_add_f64_e32 v[177:178], v[187:188], v[173:174]
	v_mul_f64_e32 v[183:184], s[10:11], v[145:146]
	v_mul_f64_e32 v[187:188], s[10:11], v[139:140]
	v_add_f64_e32 v[173:174], v[189:190], v[171:172]
	v_mul_f64_e32 v[189:190], s[20:21], v[159:160]
	v_add_f64_e32 v[171:172], v[175:176], v[177:178]
	v_mul_f64_e32 v[177:178], s[12:13], v[131:132]
	v_mul_f64_e32 v[131:132], s[20:21], v[163:164]
	;; [unrolled: 1-line block ×3, first 2 shown]
	v_add_f64_e32 v[183:184], v[227:228], v[183:184]
	v_add_f64_e64 v[187:188], v[187:188], -v[215:216]
	v_add_f64_e32 v[189:190], v[229:230], v[189:190]
	v_add_f64_e64 v[177:178], v[177:178], -v[209:210]
	v_add_f64_e32 v[131:132], v[2:3], v[131:132]
	scratch_load_b64 v[2:3], off, off offset:24 th:TH_LOAD_LU ; 8-byte Folded Reload
	v_add_f64_e32 v[175:176], v[225:226], v[175:176]
	v_add_f64_e32 v[177:178], v[177:178], v[243:244]
	;; [unrolled: 1-line block ×4, first 2 shown]
	s_delay_alu instid0(VALU_DEP_4) | instskip(NEXT) | instid1(VALU_DEP_4)
	v_add_f64_e32 v[175:176], v[175:176], v[235:236]
	v_add_f64_e32 v[177:178], v[187:188], v[177:178]
	s_delay_alu instid0(VALU_DEP_2) | instskip(SKIP_1) | instid1(VALU_DEP_3)
	v_add_f64_e32 v[175:176], v[183:184], v[175:176]
	v_mul_f64_e32 v[183:184], s[0:1], v[155:156]
	v_add_f64_e32 v[187:188], v[191:192], v[177:178]
	s_delay_alu instid0(VALU_DEP_3) | instskip(NEXT) | instid1(VALU_DEP_3)
	v_add_f64_e32 v[175:176], v[189:190], v[175:176]
	v_add_f64_e64 v[183:184], v[183:184], -v[219:220]
	s_delay_alu instid0(VALU_DEP_2) | instskip(NEXT) | instid1(VALU_DEP_2)
	v_add_f64_e32 v[177:178], v[193:194], v[175:176]
	v_add_f64_e32 v[175:176], v[183:184], v[187:188]
	s_wait_loadcnt 0x0
	v_add_f64_e32 v[90:91], v[2:3], v[119:120]
	scratch_load_b64 v[2:3], off, off offset:32 th:TH_LOAD_LU ; 8-byte Folded Reload
	v_add_f64_e32 v[90:91], v[90:91], v[104:105]
	s_delay_alu instid0(VALU_DEP_1) | instskip(NEXT) | instid1(VALU_DEP_1)
	v_add_f64_e32 v[90:91], v[90:91], v[117:118]
	v_add_f64_e32 v[90:91], v[90:91], v[123:124]
	s_delay_alu instid0(VALU_DEP_1) | instskip(NEXT) | instid1(VALU_DEP_1)
	v_add_f64_e32 v[90:91], v[90:91], v[125:126]
	;; [unrolled: 3-line block ×3, first 2 shown]
	v_add_f64_e32 v[90:91], v[90:91], v[151:152]
	s_wait_loadcnt 0x0
	v_add_f64_e32 v[92:93], v[2:3], v[110:111]
	s_delay_alu instid0(VALU_DEP_1) | instskip(NEXT) | instid1(VALU_DEP_1)
	v_add_f64_e32 v[92:93], v[92:93], v[179:180]
	v_add_f64_e32 v[92:93], v[92:93], v[113:114]
	s_delay_alu instid0(VALU_DEP_1) | instskip(NEXT) | instid1(VALU_DEP_1)
	v_add_f64_e32 v[92:93], v[92:93], v[121:122]
	v_add_f64_e32 v[92:93], v[92:93], v[195:196]
	s_delay_alu instid0(VALU_DEP_1) | instskip(SKIP_2) | instid1(VALU_DEP_1)
	v_add_f64_e32 v[92:93], v[92:93], v[0:1]
	scratch_load_b64 v[0:1], off, off offset:16 th:TH_LOAD_LU ; 8-byte Folded Reload
	v_add_f64_e32 v[92:93], v[92:93], v[108:109]
	v_add_f64_e32 v[92:93], v[92:93], v[197:198]
	s_delay_alu instid0(VALU_DEP_1)
	v_add_f64_e32 v[92:93], v[92:93], v[233:234]
	s_wait_loadcnt 0x0
	v_add_f64_e32 v[94:95], v[90:91], v[0:1]
	v_lshl_add_u32 v90, v251, 4, v253
	ds_store_b128 v90, v[127:130] offset:224
	ds_store_b128 v90, v[76:79] offset:896
	;; [unrolled: 1-line block ×9, first 2 shown]
	ds_store_b128 v252, v[92:95]
	ds_store_b128 v90, v[68:71] offset:1120
.LBB0_5:
	s_or_b32 exec_lo, exec_lo, s33
	s_add_nc_u64 s[0:1], s[8:9], 0x4d0
	global_wb scope:SCOPE_SE
	s_wait_storecnt_dscnt 0x0
	s_barrier_signal -1
	s_barrier_wait -1
	global_inv scope:SCOPE_SE
	s_clause 0x6
	global_load_b128 v[84:87], v[88:89], off offset:1232
	global_load_b128 v[88:91], v254, s[0:1] offset:176
	global_load_b128 v[92:95], v254, s[0:1] offset:352
	;; [unrolled: 1-line block ×6, first 2 shown]
	ds_load_b128 v[113:116], v252
	ds_load_b128 v[117:120], v252 offset:176
	ds_load_b128 v[121:124], v252 offset:352
	;; [unrolled: 1-line block ×6, first 2 shown]
	s_mov_b32 s0, 0x37e14327
	s_mov_b32 s1, 0x3fe948f6
	s_mov_b32 s8, 0x36b3c0b5
	s_mov_b32 s10, 0xe976ee23
	s_mov_b32 s9, 0x3fac98ee
	s_mov_b32 s11, 0x3fe11646
	s_mov_b32 s13, 0x3fe77f67
	s_mov_b32 s12, 0x5476071b
	s_mov_b32 s15, 0xbfd5d0dc
	s_mov_b32 s14, 0xb247c609
	s_wait_loadcnt_dscnt 0x606
	v_mul_f64_e32 v[141:142], v[115:116], v[86:87]
	v_mul_f64_e32 v[86:87], v[113:114], v[86:87]
	s_wait_loadcnt_dscnt 0x505
	v_mul_f64_e32 v[143:144], v[119:120], v[90:91]
	v_mul_f64_e32 v[90:91], v[117:118], v[90:91]
	;; [unrolled: 3-line block ×7, first 2 shown]
	v_fma_f64 v[113:114], v[113:114], v[84:85], -v[141:142]
	v_fma_f64 v[115:116], v[115:116], v[84:85], v[86:87]
	v_fma_f64 v[84:85], v[117:118], v[88:89], -v[143:144]
	v_fma_f64 v[86:87], v[119:120], v[88:89], v[90:91]
	;; [unrolled: 2-line block ×7, first 2 shown]
	ds_store_b128 v252, v[113:116]
	ds_store_b128 v252, v[84:87] offset:176
	ds_store_b128 v252, v[88:91] offset:352
	;; [unrolled: 1-line block ×6, first 2 shown]
	global_wb scope:SCOPE_SE
	s_wait_dscnt 0x0
	s_barrier_signal -1
	s_barrier_wait -1
	global_inv scope:SCOPE_SE
	ds_load_b128 v[84:87], v252 offset:176
	ds_load_b128 v[88:91], v252 offset:1056
	;; [unrolled: 1-line block ×6, first 2 shown]
	s_wait_dscnt 0x4
	v_add_f64_e32 v[108:109], v[84:85], v[88:89]
	v_add_f64_e32 v[110:111], v[86:87], v[90:91]
	s_wait_dscnt 0x2
	v_add_f64_e32 v[113:114], v[96:97], v[92:93]
	v_add_f64_e32 v[115:116], v[98:99], v[94:95]
	;; [unrolled: 3-line block ×3, first 2 shown]
	v_add_f64_e64 v[92:93], v[96:97], -v[92:93]
	v_add_f64_e64 v[94:95], v[98:99], -v[94:95]
	;; [unrolled: 1-line block ×6, first 2 shown]
	v_add_f64_e32 v[84:85], v[113:114], v[108:109]
	v_add_f64_e32 v[86:87], v[115:116], v[110:111]
	v_add_f64_e64 v[100:101], v[108:109], -v[117:118]
	v_add_f64_e64 v[102:103], v[110:111], -v[119:120]
	;; [unrolled: 1-line block ×10, first 2 shown]
	v_add_f64_e32 v[92:93], v[96:97], v[92:93]
	v_add_f64_e32 v[94:95], v[98:99], v[94:95]
	v_add_f64_e64 v[96:97], v[88:89], -v[96:97]
	v_add_f64_e64 v[98:99], v[90:91], -v[98:99]
	v_add_f64_e32 v[117:118], v[117:118], v[84:85]
	v_add_f64_e32 v[119:120], v[119:120], v[86:87]
	ds_load_b128 v[84:87], v252
	s_wait_alu 0xfffe
	v_mul_f64_e32 v[100:101], s[0:1], v[100:101]
	v_mul_f64_e32 v[102:103], s[0:1], v[102:103]
	s_mov_b32 s0, 0x429ad128
	v_mul_f64_e32 v[113:114], s[8:9], v[104:105]
	v_mul_f64_e32 v[115:116], s[8:9], v[106:107]
	;; [unrolled: 1-line block ×4, first 2 shown]
	s_mov_b32 s1, 0xbfebfeb5
	s_mov_b32 s10, 0xaaaaaaaa
	s_wait_alu 0xfffe
	v_mul_f64_e32 v[129:130], s[0:1], v[125:126]
	v_mul_f64_e32 v[131:132], s[0:1], v[127:128]
	s_mov_b32 s11, 0xbff2aaaa
	v_add_f64_e32 v[88:89], v[92:93], v[88:89]
	v_add_f64_e32 v[90:91], v[94:95], v[90:91]
	global_wb scope:SCOPE_SE
	s_wait_dscnt 0x0
	s_barrier_signal -1
	s_barrier_wait -1
	global_inv scope:SCOPE_SE
	v_add_f64_e32 v[84:85], v[84:85], v[117:118]
	v_add_f64_e32 v[86:87], v[86:87], v[119:120]
	v_fma_f64 v[92:93], v[104:105], s[8:9], v[100:101]
	v_fma_f64 v[94:95], v[106:107], s[8:9], v[102:103]
	v_fma_f64 v[104:105], v[108:109], s[12:13], -v[113:114]
	v_fma_f64 v[106:107], v[110:111], s[12:13], -v[115:116]
	s_mov_b32 s13, 0xbfe77f67
	v_fma_f64 v[113:114], v[96:97], s[14:15], v[121:122]
	v_fma_f64 v[115:116], v[98:99], s[14:15], v[123:124]
	s_mov_b32 s15, 0x3fd5d0dc
	v_fma_f64 v[121:122], v[125:126], s[0:1], -v[121:122]
	v_fma_f64 v[123:124], v[127:128], s[0:1], -v[123:124]
	s_wait_alu 0xfffe
	v_fma_f64 v[96:97], v[96:97], s[14:15], -v[129:130]
	v_fma_f64 v[98:99], v[98:99], s[14:15], -v[131:132]
	v_fma_f64 v[100:101], v[108:109], s[12:13], -v[100:101]
	v_fma_f64 v[102:103], v[110:111], s[12:13], -v[102:103]
	s_mov_b32 s0, 0x37c3f68c
	s_mov_b32 s1, 0xbfdc38aa
	v_fma_f64 v[117:118], v[117:118], s[10:11], v[84:85]
	v_fma_f64 v[119:120], v[119:120], s[10:11], v[86:87]
	s_wait_alu 0xfffe
	v_fma_f64 v[110:111], v[88:89], s[0:1], v[113:114]
	v_fma_f64 v[108:109], v[90:91], s[0:1], v[115:116]
	;; [unrolled: 1-line block ×6, first 2 shown]
	v_add_f64_e32 v[125:126], v[92:93], v[117:118]
	v_add_f64_e32 v[127:128], v[94:95], v[119:120]
	;; [unrolled: 1-line block ×7, first 2 shown]
	v_add_f64_e64 v[90:91], v[127:128], -v[110:111]
	v_add_f64_e32 v[92:93], v[129:130], v[123:124]
	v_add_f64_e64 v[94:95], v[131:132], -v[121:122]
	v_add_f64_e64 v[96:97], v[100:101], -v[115:116]
	v_add_f64_e32 v[98:99], v[113:114], v[102:103]
	v_add_f64_e32 v[100:101], v[100:101], v[115:116]
	v_add_f64_e64 v[102:103], v[102:103], -v[113:114]
	v_add_f64_e64 v[104:105], v[129:130], -v[123:124]
	v_add_f64_e32 v[106:107], v[121:122], v[131:132]
	v_add_f64_e64 v[108:109], v[125:126], -v[108:109]
	v_add_f64_e32 v[110:111], v[110:111], v[127:128]
	ds_store_b128 v255, v[84:87]
	ds_store_b128 v255, v[88:91] offset:16
	ds_store_b128 v255, v[92:95] offset:32
	;; [unrolled: 1-line block ×6, first 2 shown]
	global_wb scope:SCOPE_SE
	s_wait_dscnt 0x0
	s_barrier_signal -1
	s_barrier_wait -1
	global_inv scope:SCOPE_SE
	s_and_saveexec_b32 s0, vcc_lo
	s_cbranch_execz .LBB0_7
; %bb.6:
	ds_load_b128 v[84:87], v252
	ds_load_b128 v[88:91], v252 offset:112
	ds_load_b128 v[92:95], v252 offset:224
	;; [unrolled: 1-line block ×10, first 2 shown]
.LBB0_7:
	s_wait_alu 0xfffe
	s_or_b32 exec_lo, exec_lo, s0
	s_and_saveexec_b32 s16, vcc_lo
	s_cbranch_execz .LBB0_9
; %bb.8:
	s_wait_dscnt 0x9
	v_mul_f64_e32 v[113:114], v[30:31], v[88:89]
	v_mul_f64_e32 v[30:31], v[30:31], v[90:91]
	s_wait_dscnt 0x3
	v_mul_f64_e32 v[121:122], v[58:59], v[82:83]
	v_mul_f64_e32 v[58:59], v[58:59], v[80:81]
	;; [unrolled: 3-line block ×3, first 2 shown]
	s_wait_dscnt 0x1
	v_mul_f64_e32 v[129:130], v[42:43], v[74:75]
	s_wait_dscnt 0x0
	v_mul_f64_e32 v[131:132], v[38:39], v[70:71]
	v_mul_f64_e32 v[135:136], v[50:51], v[76:77]
	;; [unrolled: 1-line block ×13, first 2 shown]
	s_mov_b32 s26, 0xfd768dbf
	s_mov_b32 s27, 0xbfd207e7
	;; [unrolled: 1-line block ×9, first 2 shown]
	s_wait_alu 0xfffe
	s_mov_b32 s28, s24
	s_mov_b32 s10, 0x7f775887
	s_mov_b32 s8, 0x9bcd5057
	s_mov_b32 s11, 0xbfe4f49e
	s_mov_b32 s9, 0xbfeeb42a
	s_mov_b32 s35, 0x3fd207e7
	s_mov_b32 s30, s18
	s_mov_b32 s34, s26
	s_mov_b32 s14, 0x640f44db
	v_fma_f64 v[90:91], v[28:29], v[90:91], -v[113:114]
	v_fma_f64 v[88:89], v[28:29], v[88:89], v[30:31]
	v_fma_f64 v[46:47], v[56:57], v[80:81], v[121:122]
	v_fma_f64 v[50:51], v[56:57], v[82:83], -v[58:59]
	v_fma_f64 v[38:39], v[48:49], v[76:77], v[125:126]
	v_fma_f64 v[56:57], v[32:33], v[92:93], v[127:128]
	;; [unrolled: 1-line block ×4, first 2 shown]
	v_fma_f64 v[42:43], v[48:49], v[78:79], -v[135:136]
	v_fma_f64 v[48:49], v[32:33], v[94:95], -v[137:138]
	;; [unrolled: 1-line block ×4, first 2 shown]
	v_fma_f64 v[104:105], v[60:61], v[104:105], v[115:116]
	v_fma_f64 v[108:109], v[64:65], v[108:109], v[117:118]
	v_fma_f64 v[60:61], v[60:61], v[106:107], -v[62:63]
	v_fma_f64 v[62:63], v[64:65], v[110:111], -v[66:67]
	v_fma_f64 v[64:65], v[52:53], v[100:101], v[119:120]
	v_fma_f64 v[52:53], v[52:53], v[102:103], -v[54:55]
	v_fma_f64 v[54:55], v[44:45], v[96:97], v[123:124]
	v_fma_f64 v[44:45], v[44:45], v[98:99], -v[133:134]
	s_mov_b32 s0, 0xd9c712b6
	s_mov_b32 s12, 0x8764f0ba
	;; [unrolled: 1-line block ×5, first 2 shown]
	v_add_f64_e32 v[36:37], v[86:87], v[90:91]
	v_add_f64_e32 v[40:41], v[84:85], v[88:89]
	v_add_f64_e64 v[70:71], v[56:57], -v[34:35]
	v_add_f64_e64 v[72:73], v[88:89], -v[28:29]
	v_add_f64_e32 v[88:89], v[88:89], v[28:29]
	v_add_f64_e64 v[80:81], v[48:49], -v[32:33]
	v_add_f64_e64 v[82:83], v[90:91], -v[30:31]
	v_add_f64_e32 v[90:91], v[90:91], v[30:31]
	v_add_f64_e64 v[58:59], v[104:105], -v[108:109]
	v_add_f64_e32 v[98:99], v[104:105], v[108:109]
	v_add_f64_e64 v[74:75], v[60:61], -v[62:63]
	v_add_f64_e64 v[66:67], v[64:65], -v[46:47]
	;; [unrolled: 1-line block ×5, first 2 shown]
	v_add_f64_e32 v[102:103], v[54:55], v[38:39]
	v_add_f64_e32 v[94:95], v[52:53], v[50:51]
	;; [unrolled: 1-line block ×9, first 2 shown]
	v_mul_f64_e32 v[115:116], s[24:25], v[70:71]
	v_mul_f64_e32 v[117:118], s[26:27], v[72:73]
	v_mul_f64_e32 v[153:154], s[18:19], v[72:73]
	s_wait_alu 0xfffe
	v_mul_f64_e32 v[181:182], s[28:29], v[72:73]
	v_mul_f64_e32 v[125:126], s[24:25], v[80:81]
	;; [unrolled: 1-line block ×11, first 2 shown]
	s_mov_b32 s21, 0xbfed1bb4
	v_mul_f64_e32 v[141:142], s[30:31], v[80:81]
	s_wait_alu 0xfffe
	v_mul_f64_e32 v[183:184], s[20:21], v[82:83]
	v_mul_f64_e32 v[82:83], s[28:29], v[82:83]
	v_mul_f64_e32 v[151:152], s[34:35], v[70:71]
	v_mul_f64_e32 v[161:162], s[34:35], v[80:81]
	v_mul_f64_e32 v[171:172], s[22:23], v[70:71]
	v_mul_f64_e32 v[179:180], s[22:23], v[80:81]
	v_mul_f64_e32 v[133:134], s[28:29], v[68:69]
	v_mul_f64_e32 v[139:140], s[28:29], v[78:79]
	v_mul_f64_e32 v[113:114], s[22:23], v[68:69]
	v_mul_f64_e32 v[123:124], s[22:23], v[78:79]
	v_mul_f64_e32 v[169:170], s[34:35], v[68:69]
	v_mul_f64_e32 v[177:178], s[34:35], v[78:79]
	v_mul_f64_e32 v[68:69], s[18:19], v[68:69]
	v_mul_f64_e32 v[78:79], s[18:19], v[78:79]
	v_mul_f64_e32 v[131:132], s[26:27], v[66:67]
	v_mul_f64_e32 v[137:138], s[26:27], v[76:77]
	v_add_f64_e32 v[36:37], v[36:37], v[44:45]
	v_add_f64_e32 v[40:41], v[40:41], v[54:55]
	v_mul_f64_e32 v[54:55], s[22:23], v[72:73]
	v_mul_f64_e32 v[72:73], s[20:21], v[72:73]
	;; [unrolled: 1-line block ×4, first 2 shown]
	v_fma_f64 v[187:188], v[48:49], s[12:13], v[115:116]
	v_fma_f64 v[189:190], v[90:91], s[8:9], v[117:118]
	v_fma_f64 v[117:118], v[90:91], s[8:9], -v[117:118]
	v_fma_f64 v[205:206], v[90:91], s[14:15], v[153:154]
	v_fma_f64 v[153:154], v[90:91], s[14:15], -v[153:154]
	v_fma_f64 v[203:204], v[88:89], s[10:11], -v[143:144]
	v_fma_f64 v[143:144], v[88:89], s[10:11], v[143:144]
	v_fma_f64 v[199:200], v[88:89], s[8:9], -v[127:128]
	v_fma_f64 v[127:128], v[88:89], s[8:9], v[127:128]
	;; [unrolled: 2-line block ×4, first 2 shown]
	v_fma_f64 v[197:198], v[56:57], s[12:13], -v[125:126]
	v_fma_f64 v[115:116], v[48:49], s[12:13], -v[115:116]
	v_fma_f64 v[125:126], v[56:57], s[12:13], v[125:126]
	v_fma_f64 v[213:214], v[88:89], s[0:1], v[183:184]
	v_mul_f64_e32 v[167:168], s[30:31], v[66:67]
	v_mul_f64_e32 v[175:176], s[30:31], v[76:77]
	v_fma_f64 v[215:216], v[56:57], s[8:9], -v[161:162]
	v_fma_f64 v[161:162], v[56:57], s[8:9], v[161:162]
	v_fma_f64 v[217:218], v[48:49], s[10:11], v[171:172]
	v_fma_f64 v[219:220], v[56:57], s[10:11], -v[179:180]
	v_fma_f64 v[171:172], v[48:49], s[10:11], -v[171:172]
	v_fma_f64 v[179:180], v[56:57], s[10:11], v[179:180]
	v_mul_f64_e32 v[66:67], s[22:23], v[66:67]
	v_fma_f64 v[185:186], v[96:97], s[10:11], v[113:114]
	v_fma_f64 v[195:196], v[102:103], s[10:11], -v[123:124]
	v_fma_f64 v[113:114], v[96:97], s[10:11], -v[113:114]
	v_fma_f64 v[123:124], v[102:103], s[10:11], v[123:124]
	v_fma_f64 v[225:226], v[96:97], s[14:15], v[68:69]
	v_fma_f64 v[227:228], v[102:103], s[14:15], -v[78:79]
	v_add_f64_e32 v[36:37], v[36:37], v[52:53]
	v_add_f64_e32 v[40:41], v[40:41], v[64:65]
	v_mul_f64_e32 v[52:53], s[20:21], v[70:71]
	v_mul_f64_e32 v[64:65], s[20:21], v[80:81]
	v_fma_f64 v[201:202], v[90:91], s[10:11], v[54:55]
	v_fma_f64 v[54:55], v[90:91], s[10:11], -v[54:55]
	v_fma_f64 v[211:212], v[90:91], s[0:1], -v[72:73]
	v_fma_f64 v[72:73], v[90:91], s[0:1], v[72:73]
	v_fma_f64 v[90:91], v[88:89], s[0:1], -v[183:184]
	v_fma_f64 v[183:184], v[48:49], s[8:9], v[151:152]
	v_fma_f64 v[151:152], v[48:49], s[8:9], -v[151:152]
	v_add_f64_e32 v[117:118], v[86:87], v[117:118]
	v_add_f64_e32 v[143:144], v[84:85], v[143:144]
	;; [unrolled: 1-line block ×4, first 2 shown]
	v_fma_f64 v[68:69], v[96:97], s[14:15], -v[68:69]
	v_fma_f64 v[78:79], v[102:103], s[14:15], v[78:79]
	v_add_f64_e32 v[181:182], v[86:87], v[181:182]
	v_add_f64_e32 v[163:164], v[84:85], v[163:164]
	v_mul_f64_e32 v[157:158], s[28:29], v[76:77]
	v_mul_f64_e32 v[76:77], s[22:23], v[76:77]
	;; [unrolled: 1-line block ×7, first 2 shown]
	v_fma_f64 v[80:81], v[94:95], s[0:1], v[110:111]
	v_fma_f64 v[193:194], v[100:101], s[0:1], -v[121:122]
	v_fma_f64 v[110:111], v[94:95], s[0:1], -v[110:111]
	v_fma_f64 v[121:122], v[100:101], s[0:1], v[121:122]
	v_mul_f64_e32 v[173:174], s[24:25], v[74:75]
	v_mul_f64_e32 v[155:156], s[22:23], v[74:75]
	;; [unrolled: 1-line block ×3, first 2 shown]
	v_add_f64_e32 v[36:37], v[36:37], v[60:61]
	v_add_f64_e32 v[40:41], v[40:41], v[104:105]
	v_fma_f64 v[60:61], v[88:89], s[12:13], v[82:83]
	v_fma_f64 v[82:83], v[88:89], s[12:13], -v[82:83]
	v_fma_f64 v[88:89], v[48:49], s[14:15], v[44:45]
	v_fma_f64 v[104:105], v[56:57], s[14:15], -v[141:142]
	v_fma_f64 v[44:45], v[48:49], s[14:15], -v[44:45]
	v_fma_f64 v[141:142], v[56:57], s[14:15], v[141:142]
	v_fma_f64 v[221:222], v[48:49], s[0:1], v[52:53]
	v_fma_f64 v[223:224], v[56:57], s[0:1], -v[64:65]
	v_fma_f64 v[48:49], v[48:49], s[0:1], -v[52:53]
	v_fma_f64 v[52:53], v[56:57], s[0:1], v[64:65]
	v_add_f64_e32 v[56:57], v[86:87], v[189:190]
	v_add_f64_e32 v[189:190], v[86:87], v[201:202]
	;; [unrolled: 1-line block ×12, first 2 shown]
	v_fma_f64 v[90:91], v[96:97], s[12:13], -v[133:134]
	v_fma_f64 v[211:212], v[96:97], s[8:9], v[169:170]
	v_fma_f64 v[213:214], v[102:103], s[8:9], -v[177:178]
	v_fma_f64 v[169:170], v[96:97], s[8:9], -v[169:170]
	v_fma_f64 v[177:178], v[102:103], s[8:9], v[177:178]
	v_fma_f64 v[70:71], v[92:93], s[14:15], v[106:107]
	v_fma_f64 v[191:192], v[98:99], s[14:15], -v[119:120]
	v_fma_f64 v[106:107], v[92:93], s[14:15], -v[106:107]
	v_fma_f64 v[119:120], v[98:99], s[14:15], v[119:120]
	v_add_f64_e32 v[36:37], v[36:37], v[62:63]
	v_add_f64_e32 v[40:41], v[40:41], v[108:109]
	;; [unrolled: 1-line block ×4, first 2 shown]
	v_fma_f64 v[82:83], v[96:97], s[12:13], v[133:134]
	v_fma_f64 v[108:109], v[102:103], s[12:13], v[139:140]
	v_fma_f64 v[84:85], v[102:103], s[12:13], -v[139:140]
	v_fma_f64 v[133:134], v[96:97], s[0:1], v[149:150]
	v_fma_f64 v[139:140], v[102:103], s[0:1], -v[159:160]
	v_fma_f64 v[149:150], v[96:97], s[0:1], -v[149:150]
	v_fma_f64 v[159:160], v[102:103], s[0:1], v[159:160]
	v_add_f64_e32 v[96:97], v[115:116], v[117:118]
	v_add_f64_e32 v[56:57], v[187:188], v[56:57]
	v_add_f64_e32 v[88:89], v[88:89], v[189:190]
	v_add_f64_e32 v[44:45], v[44:45], v[54:55]
	v_add_f64_e32 v[54:55], v[141:142], v[143:144]
	v_add_f64_e32 v[64:65], v[197:198], v[64:65]
	v_add_f64_e32 v[102:103], v[125:126], v[127:128]
	v_add_f64_e32 v[104:105], v[104:105], v[199:200]
	v_add_f64_e32 v[115:116], v[183:184], v[201:202]
	v_add_f64_e32 v[125:126], v[151:152], v[153:154]
	v_add_f64_e32 v[48:49], v[48:49], v[181:182]
	v_add_f64_e32 v[143:144], v[171:172], v[207:208]
	v_add_f64_e32 v[151:152], v[179:180], v[209:210]
	v_add_f64_e32 v[127:128], v[161:162], v[163:164]
	v_add_f64_e32 v[117:118], v[215:216], v[203:204]
	v_add_f64_e32 v[72:73], v[217:218], v[72:73]
	v_add_f64_e32 v[86:87], v[219:220], v[86:87]
	v_add_f64_e32 v[141:142], v[221:222], v[205:206]
	v_fma_f64 v[161:162], v[94:95], s[14:15], v[167:168]
	v_fma_f64 v[163:164], v[100:101], s[14:15], -v[175:176]
	v_fma_f64 v[167:168], v[94:95], s[14:15], -v[167:168]
	v_fma_f64 v[171:172], v[100:101], s[14:15], v[175:176]
	v_fma_f64 v[175:176], v[94:95], s[10:11], v[66:67]
	v_fma_f64 v[66:67], v[94:95], s[10:11], -v[66:67]
	v_fma_f64 v[153:154], v[100:101], s[12:13], -v[157:158]
	v_fma_f64 v[157:158], v[100:101], s[12:13], v[157:158]
	v_fma_f64 v[179:180], v[100:101], s[10:11], -v[76:77]
	v_add_f64_e32 v[36:37], v[36:37], v[50:51]
	v_add_f64_e32 v[40:41], v[40:41], v[46:47]
	;; [unrolled: 1-line block ×4, first 2 shown]
	v_fma_f64 v[52:53], v[94:95], s[8:9], v[131:132]
	v_fma_f64 v[62:63], v[94:95], s[8:9], -v[131:132]
	v_fma_f64 v[131:132], v[100:101], s[8:9], v[137:138]
	v_fma_f64 v[60:61], v[100:101], s[8:9], -v[137:138]
	;; [unrolled: 2-line block ×3, first 2 shown]
	v_fma_f64 v[76:77], v[100:101], s[10:11], v[76:77]
	v_add_f64_e32 v[94:95], v[113:114], v[96:97]
	v_add_f64_e32 v[56:57], v[185:186], v[56:57]
	;; [unrolled: 1-line block ×18, first 2 shown]
	v_fma_f64 v[113:114], v[98:99], s[0:1], v[135:136]
	v_fma_f64 v[115:116], v[92:93], s[10:11], v[145:146]
	v_fma_f64 v[123:124], v[92:93], s[10:11], -v[145:146]
	v_fma_f64 v[127:128], v[92:93], s[12:13], v[165:166]
	v_fma_f64 v[133:134], v[92:93], s[12:13], -v[165:166]
	v_fma_f64 v[139:140], v[92:93], s[8:9], v[58:59]
	v_fma_f64 v[125:126], v[98:99], s[10:11], v[155:156]
	v_fma_f64 v[117:118], v[98:99], s[10:11], -v[155:156]
	v_fma_f64 v[141:142], v[98:99], s[8:9], -v[74:75]
	v_add_f64_e32 v[36:37], v[36:37], v[42:43]
	v_add_f64_e32 v[38:39], v[40:41], v[38:39]
	;; [unrolled: 1-line block ×4, first 2 shown]
	v_fma_f64 v[46:47], v[92:93], s[0:1], v[129:130]
	v_fma_f64 v[78:79], v[92:93], s[0:1], -v[129:130]
	v_fma_f64 v[92:93], v[92:93], s[8:9], -v[58:59]
	;; [unrolled: 1-line block ×3, first 2 shown]
	v_fma_f64 v[135:136], v[98:99], s[12:13], v[173:174]
	v_fma_f64 v[129:130], v[98:99], s[12:13], -v[173:174]
	v_fma_f64 v[74:75], v[98:99], s[8:9], v[74:75]
	v_add_f64_e32 v[56:57], v[80:81], v[56:57]
	v_add_f64_e32 v[52:53], v[52:53], v[82:83]
	;; [unrolled: 1-line block ×40, first 2 shown]
	v_lshl_add_u32 v72, v251, 4, v253
	v_add_f64_e32 v[30:31], v[96:97], v[30:31]
	v_add_f64_e32 v[28:29], v[98:99], v[28:29]
	;; [unrolled: 1-line block ×4, first 2 shown]
	ds_store_b128 v72, v[44:47] offset:448
	ds_store_b128 v72, v[36:39] offset:560
	;; [unrolled: 1-line block ×8, first 2 shown]
	ds_store_b128 v252, v[28:31]
	ds_store_b128 v72, v[60:63] offset:112
	ds_store_b128 v72, v[56:59] offset:1120
.LBB0_9:
	s_wait_alu 0xfffe
	s_or_b32 exec_lo, exec_lo, s16
	global_wb scope:SCOPE_SE
	s_wait_dscnt 0x0
	s_barrier_signal -1
	s_barrier_wait -1
	global_inv scope:SCOPE_SE
	ds_load_b128 v[28:31], v252
	ds_load_b128 v[32:35], v252 offset:176
	ds_load_b128 v[36:39], v252 offset:352
	ds_load_b128 v[40:43], v252 offset:528
	ds_load_b128 v[44:47], v252 offset:704
	ds_load_b128 v[48:51], v252 offset:880
	ds_load_b128 v[52:55], v252 offset:1056
	scratch_load_b128 v[0:3], off, off th:TH_LOAD_LU ; 16-byte Folded Reload
	v_mad_co_u64_u32 v[70:71], null, s6, v112, 0
	v_mad_co_u64_u32 v[72:73], null, s4, v251, 0
	s_mov_b32 s0, 0x606a63be
	s_mov_b32 s1, 0x3f8a98ef
	s_wait_dscnt 0x5
	v_mul_f64_e32 v[58:59], v[6:7], v[34:35]
	v_mul_f64_e32 v[6:7], v[6:7], v[32:33]
	s_wait_dscnt 0x4
	v_mul_f64_e32 v[60:61], v[10:11], v[38:39]
	v_mul_f64_e32 v[10:11], v[10:11], v[36:37]
	;; [unrolled: 3-line block ×6, first 2 shown]
	v_fma_f64 v[6:7], v[4:5], v[34:35], -v[6:7]
	v_fma_f64 v[10:11], v[8:9], v[38:39], -v[10:11]
	v_fma_f64 v[34:35], v[12:13], v[40:41], v[62:63]
	v_fma_f64 v[14:15], v[12:13], v[42:43], -v[14:15]
	v_fma_f64 v[38:39], v[16:17], v[50:51], -v[18:19]
	v_fma_f64 v[40:41], v[24:25], v[52:53], v[68:69]
	v_fma_f64 v[26:27], v[24:25], v[54:55], -v[26:27]
	s_wait_alu 0xfffe
	v_mul_f64_e32 v[6:7], s[0:1], v[6:7]
	v_mul_f64_e32 v[10:11], s[0:1], v[10:11]
	v_mul_f64_e32 v[12:13], s[0:1], v[34:35]
	v_mul_f64_e32 v[14:15], s[0:1], v[14:15]
	v_mul_f64_e32 v[24:25], s[0:1], v[40:41]
	v_mul_f64_e32 v[26:27], s[0:1], v[26:27]
	s_wait_loadcnt 0x0
	v_mul_f64_e32 v[56:57], v[2:3], v[30:31]
	v_mul_f64_e32 v[2:3], v[2:3], v[28:29]
	s_delay_alu instid0(VALU_DEP_2) | instskip(NEXT) | instid1(VALU_DEP_2)
	v_fma_f64 v[28:29], v[0:1], v[28:29], v[56:57]
	v_fma_f64 v[2:3], v[0:1], v[30:31], -v[2:3]
	v_fma_f64 v[30:31], v[4:5], v[32:33], v[58:59]
	v_fma_f64 v[32:33], v[8:9], v[36:37], v[60:61]
	;; [unrolled: 1-line block ×3, first 2 shown]
	v_fma_f64 v[20:21], v[20:21], v[46:47], -v[22:23]
	v_fma_f64 v[22:23], v[16:17], v[48:49], v[66:67]
	v_mad_co_u64_u32 v[4:5], null, s7, v112, v[71:72]
	s_delay_alu instid0(VALU_DEP_1) | instskip(NEXT) | instid1(VALU_DEP_1)
	v_dual_mov_b32 v0, v73 :: v_dual_mov_b32 v71, v4
	v_mad_co_u64_u32 v[0:1], null, s5, v251, v[0:1]
	s_delay_alu instid0(VALU_DEP_1) | instskip(NEXT) | instid1(VALU_DEP_3)
	v_mov_b32_e32 v73, v0
	v_lshlrev_b64_e32 v[0:1], 4, v[70:71]
	s_delay_alu instid0(VALU_DEP_2) | instskip(NEXT) | instid1(VALU_DEP_2)
	v_lshlrev_b64_e32 v[42:43], 4, v[72:73]
	v_add_co_u32 v44, vcc_lo, s2, v0
	s_wait_alu 0xfffd
	s_delay_alu instid0(VALU_DEP_3)
	v_add_co_ci_u32_e32 v45, vcc_lo, s3, v1, vcc_lo
	v_mul_f64_e32 v[0:1], s[0:1], v[28:29]
	v_mul_f64_e32 v[2:3], s[0:1], v[2:3]
	;; [unrolled: 1-line block ×8, first 2 shown]
	v_add_co_u32 v28, vcc_lo, v44, v42
	s_wait_alu 0xfffd
	v_add_co_ci_u32_e32 v29, vcc_lo, v45, v43, vcc_lo
	s_mul_u64 s[0:1], s[4:5], 0xb0
	s_wait_alu 0xfffe
	v_add_co_u32 v30, vcc_lo, v28, s0
	s_wait_alu 0xfffd
	v_add_co_ci_u32_e32 v31, vcc_lo, s1, v29, vcc_lo
	s_delay_alu instid0(VALU_DEP_2) | instskip(SKIP_1) | instid1(VALU_DEP_2)
	v_add_co_u32 v32, vcc_lo, v30, s0
	s_wait_alu 0xfffd
	v_add_co_ci_u32_e32 v33, vcc_lo, s1, v31, vcc_lo
	s_delay_alu instid0(VALU_DEP_2) | instskip(SKIP_1) | instid1(VALU_DEP_2)
	;; [unrolled: 4-line block ×5, first 2 shown]
	v_add_co_u32 v40, vcc_lo, v38, s0
	s_wait_alu 0xfffd
	v_add_co_ci_u32_e32 v41, vcc_lo, s1, v39, vcc_lo
	s_clause 0x4
	global_store_b128 v[28:29], v[0:3], off
	global_store_b128 v[30:31], v[4:7], off
	;; [unrolled: 1-line block ×7, first 2 shown]
.LBB0_10:
	s_nop 0
	s_sendmsg sendmsg(MSG_DEALLOC_VGPRS)
	s_endpgm
	.section	.rodata,"a",@progbits
	.p2align	6, 0x0
	.amdhsa_kernel bluestein_single_back_len77_dim1_dp_op_CI_CI
		.amdhsa_group_segment_fixed_size 28336
		.amdhsa_private_segment_fixed_size 44
		.amdhsa_kernarg_size 104
		.amdhsa_user_sgpr_count 2
		.amdhsa_user_sgpr_dispatch_ptr 0
		.amdhsa_user_sgpr_queue_ptr 0
		.amdhsa_user_sgpr_kernarg_segment_ptr 1
		.amdhsa_user_sgpr_dispatch_id 0
		.amdhsa_user_sgpr_private_segment_size 0
		.amdhsa_wavefront_size32 1
		.amdhsa_uses_dynamic_stack 0
		.amdhsa_enable_private_segment 1
		.amdhsa_system_sgpr_workgroup_id_x 1
		.amdhsa_system_sgpr_workgroup_id_y 0
		.amdhsa_system_sgpr_workgroup_id_z 0
		.amdhsa_system_sgpr_workgroup_info 0
		.amdhsa_system_vgpr_workitem_id 0
		.amdhsa_next_free_vgpr 256
		.amdhsa_next_free_sgpr 38
		.amdhsa_reserve_vcc 1
		.amdhsa_float_round_mode_32 0
		.amdhsa_float_round_mode_16_64 0
		.amdhsa_float_denorm_mode_32 3
		.amdhsa_float_denorm_mode_16_64 3
		.amdhsa_fp16_overflow 0
		.amdhsa_workgroup_processor_mode 1
		.amdhsa_memory_ordered 1
		.amdhsa_forward_progress 0
		.amdhsa_round_robin_scheduling 0
		.amdhsa_exception_fp_ieee_invalid_op 0
		.amdhsa_exception_fp_denorm_src 0
		.amdhsa_exception_fp_ieee_div_zero 0
		.amdhsa_exception_fp_ieee_overflow 0
		.amdhsa_exception_fp_ieee_underflow 0
		.amdhsa_exception_fp_ieee_inexact 0
		.amdhsa_exception_int_div_zero 0
	.end_amdhsa_kernel
	.text
.Lfunc_end0:
	.size	bluestein_single_back_len77_dim1_dp_op_CI_CI, .Lfunc_end0-bluestein_single_back_len77_dim1_dp_op_CI_CI
                                        ; -- End function
	.section	.AMDGPU.csdata,"",@progbits
; Kernel info:
; codeLenInByte = 9084
; NumSgprs: 40
; NumVgprs: 256
; ScratchSize: 44
; MemoryBound: 0
; FloatMode: 240
; IeeeMode: 1
; LDSByteSize: 28336 bytes/workgroup (compile time only)
; SGPRBlocks: 4
; VGPRBlocks: 31
; NumSGPRsForWavesPerEU: 40
; NumVGPRsForWavesPerEU: 256
; Occupancy: 5
; WaveLimiterHint : 1
; COMPUTE_PGM_RSRC2:SCRATCH_EN: 1
; COMPUTE_PGM_RSRC2:USER_SGPR: 2
; COMPUTE_PGM_RSRC2:TRAP_HANDLER: 0
; COMPUTE_PGM_RSRC2:TGID_X_EN: 1
; COMPUTE_PGM_RSRC2:TGID_Y_EN: 0
; COMPUTE_PGM_RSRC2:TGID_Z_EN: 0
; COMPUTE_PGM_RSRC2:TIDIG_COMP_CNT: 0
	.text
	.p2alignl 7, 3214868480
	.fill 96, 4, 3214868480
	.type	__hip_cuid_c404e5d8f6346c36,@object ; @__hip_cuid_c404e5d8f6346c36
	.section	.bss,"aw",@nobits
	.globl	__hip_cuid_c404e5d8f6346c36
__hip_cuid_c404e5d8f6346c36:
	.byte	0                               ; 0x0
	.size	__hip_cuid_c404e5d8f6346c36, 1

	.ident	"AMD clang version 19.0.0git (https://github.com/RadeonOpenCompute/llvm-project roc-6.4.0 25133 c7fe45cf4b819c5991fe208aaa96edf142730f1d)"
	.section	".note.GNU-stack","",@progbits
	.addrsig
	.addrsig_sym __hip_cuid_c404e5d8f6346c36
	.amdgpu_metadata
---
amdhsa.kernels:
  - .args:
      - .actual_access:  read_only
        .address_space:  global
        .offset:         0
        .size:           8
        .value_kind:     global_buffer
      - .actual_access:  read_only
        .address_space:  global
        .offset:         8
        .size:           8
        .value_kind:     global_buffer
      - .actual_access:  read_only
        .address_space:  global
        .offset:         16
        .size:           8
        .value_kind:     global_buffer
      - .actual_access:  read_only
        .address_space:  global
        .offset:         24
        .size:           8
        .value_kind:     global_buffer
      - .actual_access:  read_only
        .address_space:  global
        .offset:         32
        .size:           8
        .value_kind:     global_buffer
      - .offset:         40
        .size:           8
        .value_kind:     by_value
      - .address_space:  global
        .offset:         48
        .size:           8
        .value_kind:     global_buffer
      - .address_space:  global
        .offset:         56
        .size:           8
        .value_kind:     global_buffer
      - .address_space:  global
        .offset:         64
        .size:           8
        .value_kind:     global_buffer
      - .address_space:  global
        .offset:         72
        .size:           8
        .value_kind:     global_buffer
      - .offset:         80
        .size:           4
        .value_kind:     by_value
      - .address_space:  global
        .offset:         88
        .size:           8
        .value_kind:     global_buffer
      - .address_space:  global
        .offset:         96
        .size:           8
        .value_kind:     global_buffer
    .group_segment_fixed_size: 28336
    .kernarg_segment_align: 8
    .kernarg_segment_size: 104
    .language:       OpenCL C
    .language_version:
      - 2
      - 0
    .max_flat_workgroup_size: 253
    .name:           bluestein_single_back_len77_dim1_dp_op_CI_CI
    .private_segment_fixed_size: 44
    .sgpr_count:     40
    .sgpr_spill_count: 0
    .symbol:         bluestein_single_back_len77_dim1_dp_op_CI_CI.kd
    .uniform_work_group_size: 1
    .uses_dynamic_stack: false
    .vgpr_count:     256
    .vgpr_spill_count: 10
    .wavefront_size: 32
    .workgroup_processor_mode: 1
amdhsa.target:   amdgcn-amd-amdhsa--gfx1201
amdhsa.version:
  - 1
  - 2
...

	.end_amdgpu_metadata
